;; amdgpu-corpus repo=ROCm/rocFFT kind=compiled arch=gfx950 opt=O3
	.text
	.amdgcn_target "amdgcn-amd-amdhsa--gfx950"
	.amdhsa_code_object_version 6
	.protected	fft_rtc_fwd_len980_factors_7_5_7_4_wgs_196_tpt_196_sp_ip_CI_sbrr_dirReg ; -- Begin function fft_rtc_fwd_len980_factors_7_5_7_4_wgs_196_tpt_196_sp_ip_CI_sbrr_dirReg
	.globl	fft_rtc_fwd_len980_factors_7_5_7_4_wgs_196_tpt_196_sp_ip_CI_sbrr_dirReg
	.p2align	8
	.type	fft_rtc_fwd_len980_factors_7_5_7_4_wgs_196_tpt_196_sp_ip_CI_sbrr_dirReg,@function
fft_rtc_fwd_len980_factors_7_5_7_4_wgs_196_tpt_196_sp_ip_CI_sbrr_dirReg: ; @fft_rtc_fwd_len980_factors_7_5_7_4_wgs_196_tpt_196_sp_ip_CI_sbrr_dirReg
; %bb.0:
	s_load_dwordx2 s[12:13], s[0:1], 0x18
	s_load_dwordx4 s[4:7], s[0:1], 0x0
	s_load_dwordx2 s[10:11], s[0:1], 0x50
	v_mul_u32_u24_e32 v1, 0x14f, v0
	v_add_u32_sdwa v6, s2, v1 dst_sel:DWORD dst_unused:UNUSED_PAD src0_sel:DWORD src1_sel:WORD_1
	s_waitcnt lgkmcnt(0)
	s_load_dwordx2 s[8:9], s[12:13], 0x0
	v_mov_b32_e32 v4, 0
	v_cmp_lt_u64_e64 s[2:3], s[6:7], 2
	v_mov_b32_e32 v7, v4
	s_and_b64 vcc, exec, s[2:3]
	v_mov_b64_e32 v[2:3], 0
	s_cbranch_vccnz .LBB0_8
; %bb.1:
	s_load_dwordx2 s[2:3], s[0:1], 0x10
	s_add_u32 s14, s12, 8
	s_addc_u32 s15, s13, 0
	s_mov_b64 s[16:17], 1
	v_mov_b64_e32 v[2:3], 0
	s_waitcnt lgkmcnt(0)
	s_add_u32 s18, s2, 8
	s_addc_u32 s19, s3, 0
.LBB0_2:                                ; =>This Inner Loop Header: Depth=1
	s_load_dwordx2 s[20:21], s[18:19], 0x0
                                        ; implicit-def: $vgpr8_vgpr9
	s_waitcnt lgkmcnt(0)
	v_or_b32_e32 v5, s21, v7
	v_cmp_ne_u64_e32 vcc, 0, v[4:5]
	s_and_saveexec_b64 s[2:3], vcc
	s_xor_b64 s[22:23], exec, s[2:3]
	s_cbranch_execz .LBB0_4
; %bb.3:                                ;   in Loop: Header=BB0_2 Depth=1
	v_cvt_f32_u32_e32 v1, s20
	v_cvt_f32_u32_e32 v5, s21
	s_sub_u32 s2, 0, s20
	s_subb_u32 s3, 0, s21
	v_fmac_f32_e32 v1, 0x4f800000, v5
	v_rcp_f32_e32 v1, v1
	s_nop 0
	v_mul_f32_e32 v1, 0x5f7ffffc, v1
	v_mul_f32_e32 v5, 0x2f800000, v1
	v_trunc_f32_e32 v5, v5
	v_fmac_f32_e32 v1, 0xcf800000, v5
	v_cvt_u32_f32_e32 v5, v5
	v_cvt_u32_f32_e32 v1, v1
	v_mul_lo_u32 v8, s2, v5
	v_mul_hi_u32 v10, s2, v1
	v_mul_lo_u32 v9, s3, v1
	v_add_u32_e32 v10, v10, v8
	v_mul_lo_u32 v12, s2, v1
	v_add_u32_e32 v13, v10, v9
	v_mul_hi_u32 v8, v1, v12
	v_mul_hi_u32 v11, v1, v13
	v_mul_lo_u32 v10, v1, v13
	v_mov_b32_e32 v9, v4
	v_lshl_add_u64 v[8:9], v[8:9], 0, v[10:11]
	v_mul_hi_u32 v11, v5, v12
	v_mul_lo_u32 v12, v5, v12
	v_add_co_u32_e32 v8, vcc, v8, v12
	v_mul_hi_u32 v10, v5, v13
	s_nop 0
	v_addc_co_u32_e32 v8, vcc, v9, v11, vcc
	v_mov_b32_e32 v9, v4
	s_nop 0
	v_addc_co_u32_e32 v11, vcc, 0, v10, vcc
	v_mul_lo_u32 v10, v5, v13
	v_lshl_add_u64 v[8:9], v[8:9], 0, v[10:11]
	v_add_co_u32_e32 v1, vcc, v1, v8
	v_mul_lo_u32 v10, s2, v1
	s_nop 0
	v_addc_co_u32_e32 v5, vcc, v5, v9, vcc
	v_mul_lo_u32 v8, s2, v5
	v_mul_hi_u32 v9, s2, v1
	v_add_u32_e32 v8, v9, v8
	v_mul_lo_u32 v9, s3, v1
	v_add_u32_e32 v12, v8, v9
	v_mul_hi_u32 v14, v5, v10
	v_mul_lo_u32 v15, v5, v10
	v_mul_hi_u32 v9, v1, v12
	v_mul_lo_u32 v8, v1, v12
	v_mul_hi_u32 v10, v1, v10
	v_mov_b32_e32 v11, v4
	v_lshl_add_u64 v[8:9], v[10:11], 0, v[8:9]
	v_add_co_u32_e32 v8, vcc, v8, v15
	v_mul_hi_u32 v13, v5, v12
	s_nop 0
	v_addc_co_u32_e32 v8, vcc, v9, v14, vcc
	v_mul_lo_u32 v10, v5, v12
	s_nop 0
	v_addc_co_u32_e32 v11, vcc, 0, v13, vcc
	v_mov_b32_e32 v9, v4
	v_lshl_add_u64 v[8:9], v[8:9], 0, v[10:11]
	v_add_co_u32_e32 v1, vcc, v1, v8
	v_mul_hi_u32 v10, v6, v1
	s_nop 0
	v_addc_co_u32_e32 v5, vcc, v5, v9, vcc
	v_mad_u64_u32 v[8:9], s[2:3], v6, v5, 0
	v_mov_b32_e32 v11, v4
	v_lshl_add_u64 v[8:9], v[10:11], 0, v[8:9]
	v_mad_u64_u32 v[12:13], s[2:3], v7, v1, 0
	v_add_co_u32_e32 v1, vcc, v8, v12
	v_mad_u64_u32 v[10:11], s[2:3], v7, v5, 0
	s_nop 0
	v_addc_co_u32_e32 v8, vcc, v9, v13, vcc
	v_mov_b32_e32 v9, v4
	s_nop 0
	v_addc_co_u32_e32 v11, vcc, 0, v11, vcc
	v_lshl_add_u64 v[8:9], v[8:9], 0, v[10:11]
	v_mul_lo_u32 v1, s21, v8
	v_mul_lo_u32 v5, s20, v9
	v_mad_u64_u32 v[10:11], s[2:3], s20, v8, 0
	v_add3_u32 v1, v11, v5, v1
	v_sub_u32_e32 v5, v7, v1
	v_mov_b32_e32 v11, s21
	v_sub_co_u32_e32 v14, vcc, v6, v10
	v_lshl_add_u64 v[12:13], v[8:9], 0, 1
	s_nop 0
	v_subb_co_u32_e64 v5, s[2:3], v5, v11, vcc
	v_subrev_co_u32_e64 v10, s[2:3], s20, v14
	v_subb_co_u32_e32 v1, vcc, v7, v1, vcc
	s_nop 0
	v_subbrev_co_u32_e64 v5, s[2:3], 0, v5, s[2:3]
	v_cmp_le_u32_e64 s[2:3], s21, v5
	v_cmp_le_u32_e32 vcc, s21, v1
	s_nop 0
	v_cndmask_b32_e64 v11, 0, -1, s[2:3]
	v_cmp_le_u32_e64 s[2:3], s20, v10
	s_nop 1
	v_cndmask_b32_e64 v10, 0, -1, s[2:3]
	v_cmp_eq_u32_e64 s[2:3], s21, v5
	s_nop 1
	v_cndmask_b32_e64 v5, v11, v10, s[2:3]
	v_lshl_add_u64 v[10:11], v[8:9], 0, 2
	v_cmp_ne_u32_e64 s[2:3], 0, v5
	s_nop 1
	v_cndmask_b32_e64 v5, v13, v11, s[2:3]
	v_cndmask_b32_e64 v11, 0, -1, vcc
	v_cmp_le_u32_e32 vcc, s20, v14
	s_nop 1
	v_cndmask_b32_e64 v13, 0, -1, vcc
	v_cmp_eq_u32_e32 vcc, s21, v1
	s_nop 1
	v_cndmask_b32_e32 v1, v11, v13, vcc
	v_cmp_ne_u32_e32 vcc, 0, v1
	v_cndmask_b32_e64 v1, v12, v10, s[2:3]
	s_nop 0
	v_cndmask_b32_e32 v9, v9, v5, vcc
	v_cndmask_b32_e32 v8, v8, v1, vcc
.LBB0_4:                                ;   in Loop: Header=BB0_2 Depth=1
	s_andn2_saveexec_b64 s[2:3], s[22:23]
	s_cbranch_execz .LBB0_6
; %bb.5:                                ;   in Loop: Header=BB0_2 Depth=1
	v_cvt_f32_u32_e32 v1, s20
	s_sub_i32 s22, 0, s20
	v_rcp_iflag_f32_e32 v1, v1
	s_nop 0
	v_mul_f32_e32 v1, 0x4f7ffffe, v1
	v_cvt_u32_f32_e32 v1, v1
	v_mul_lo_u32 v5, s22, v1
	v_mul_hi_u32 v5, v1, v5
	v_add_u32_e32 v1, v1, v5
	v_mul_hi_u32 v1, v6, v1
	v_mul_lo_u32 v5, v1, s20
	v_sub_u32_e32 v5, v6, v5
	v_add_u32_e32 v8, 1, v1
	v_subrev_u32_e32 v9, s20, v5
	v_cmp_le_u32_e32 vcc, s20, v5
	s_nop 1
	v_cndmask_b32_e32 v5, v5, v9, vcc
	v_cndmask_b32_e32 v1, v1, v8, vcc
	v_add_u32_e32 v8, 1, v1
	v_cmp_le_u32_e32 vcc, s20, v5
	v_mov_b32_e32 v9, v4
	s_nop 0
	v_cndmask_b32_e32 v8, v1, v8, vcc
.LBB0_6:                                ;   in Loop: Header=BB0_2 Depth=1
	s_or_b64 exec, exec, s[2:3]
	v_mad_u64_u32 v[10:11], s[2:3], v8, s20, 0
	s_load_dwordx2 s[2:3], s[14:15], 0x0
	v_mul_lo_u32 v1, v9, s20
	v_mul_lo_u32 v5, v8, s21
	v_add3_u32 v1, v11, v5, v1
	v_sub_co_u32_e32 v5, vcc, v6, v10
	s_add_u32 s16, s16, 1
	s_nop 0
	v_subb_co_u32_e32 v1, vcc, v7, v1, vcc
	s_addc_u32 s17, s17, 0
	s_waitcnt lgkmcnt(0)
	v_mul_lo_u32 v1, s2, v1
	v_mul_lo_u32 v6, s3, v5
	v_mad_u64_u32 v[2:3], s[2:3], s2, v5, v[2:3]
	s_add_u32 s14, s14, 8
	v_add3_u32 v3, v6, v3, v1
	s_addc_u32 s15, s15, 0
	v_mov_b64_e32 v[6:7], s[6:7]
	s_add_u32 s18, s18, 8
	v_cmp_ge_u64_e32 vcc, s[16:17], v[6:7]
	s_addc_u32 s19, s19, 0
	s_cbranch_vccnz .LBB0_9
; %bb.7:                                ;   in Loop: Header=BB0_2 Depth=1
	v_mov_b64_e32 v[6:7], v[8:9]
	s_branch .LBB0_2
.LBB0_8:
	v_mov_b64_e32 v[8:9], v[6:7]
.LBB0_9:
	s_lshl_b64 s[2:3], s[6:7], 3
	s_add_u32 s2, s12, s2
	s_addc_u32 s3, s13, s3
	s_load_dwordx2 s[6:7], s[2:3], 0x0
	s_load_dwordx2 s[12:13], s[0:1], 0x20
	s_waitcnt lgkmcnt(0)
	v_mad_u64_u32 v[2:3], s[0:1], s6, v8, v[2:3]
	v_mul_lo_u32 v1, s6, v9
	v_mul_lo_u32 v4, s7, v8
	s_mov_b32 s0, 0x14e5e0b
	v_add3_u32 v3, v4, v3, v1
	v_mul_hi_u32 v1, v0, s0
	v_mul_u32_u24_e32 v1, 0xc4, v1
	v_sub_u32_e32 v25, v0, v1
	v_cmp_gt_u64_e32 vcc, s[12:13], v[8:9]
	v_lshl_add_u64 v[16:17], v[2:3], 3, s[10:11]
	v_lshl_add_u32 v24, v25, 3, 0
	s_and_saveexec_b64 s[0:1], vcc
	s_cbranch_execz .LBB0_11
; %bb.10:
	v_mad_u64_u32 v[0:1], s[2:3], s8, v25, 0
	v_mov_b32_e32 v2, v1
	v_mad_u64_u32 v[2:3], s[2:3], s9, v25, v[2:3]
	v_add_u32_e32 v5, 0xc4, v25
	v_mov_b32_e32 v1, v2
	v_mad_u64_u32 v[2:3], s[2:3], s8, v5, 0
	v_mov_b32_e32 v4, v3
	v_mad_u64_u32 v[4:5], s[2:3], s9, v5, v[4:5]
	v_add_u32_e32 v7, 0x188, v25
	v_mov_b32_e32 v3, v4
	;; [unrolled: 5-line block ×3, first 2 shown]
	v_mad_u64_u32 v[6:7], s[2:3], s8, v9, 0
	v_mov_b32_e32 v8, v7
	v_mad_u64_u32 v[8:9], s[2:3], s9, v9, v[8:9]
	v_lshl_add_u64 v[0:1], v[0:1], 3, v[16:17]
	v_lshl_add_u64 v[2:3], v[2:3], 3, v[16:17]
	v_mov_b32_e32 v7, v8
	v_lshl_add_u64 v[4:5], v[4:5], 3, v[16:17]
	v_lshl_add_u64 v[6:7], v[6:7], 3, v[16:17]
	global_load_dwordx2 v[8:9], v[0:1], off
	global_load_dwordx2 v[10:11], v[2:3], off
	;; [unrolled: 1-line block ×4, first 2 shown]
	v_add_u32_e32 v3, 0x310, v25
	v_mad_u64_u32 v[0:1], s[2:3], s8, v3, 0
	v_mov_b32_e32 v2, v1
	v_mad_u64_u32 v[2:3], s[2:3], s9, v3, v[2:3]
	v_mov_b32_e32 v1, v2
	v_lshl_add_u64 v[0:1], v[0:1], 3, v[16:17]
	global_load_dwordx2 v[0:1], v[0:1], off
	v_add_u32_e32 v2, 0xc00, v24
	s_waitcnt vmcnt(3)
	ds_write2_b64 v24, v[8:9], v[10:11] offset1:196
	s_waitcnt vmcnt(1)
	ds_write2_b64 v2, v[12:13], v[14:15] offset0:8 offset1:204
	s_waitcnt vmcnt(0)
	ds_write_b64 v24, v[0:1] offset:6272
.LBB0_11:
	s_or_b64 exec, exec, s[0:1]
	v_add_u32_e32 v4, 0x800, v24
	v_add_u32_e32 v8, 0x1000, v24
	s_waitcnt lgkmcnt(0)
	s_barrier
	ds_read2_b64 v[0:3], v24 offset1:140
	ds_read2_b64 v[4:7], v4 offset0:24 offset1:164
	ds_read_b64 v[12:13], v24 offset:6720
	ds_read2_b64 v[8:11], v8 offset0:48 offset1:188
	s_mov_b32 s2, 0x3f4a47b2
	s_mov_b32 s0, 0xbf955555
	;; [unrolled: 1-line block ×3, first 2 shown]
	s_waitcnt lgkmcnt(1)
	v_pk_add_f32 v[14:15], v[2:3], v[12:13]
	s_waitcnt lgkmcnt(0)
	v_pk_add_f32 v[18:19], v[4:5], v[10:11]
	v_pk_add_f32 v[20:21], v[6:7], v[8:9]
	;; [unrolled: 1-line block ×3, first 2 shown]
	v_pk_add_f32 v[2:3], v[2:3], v[12:13] neg_lo:[0,1] neg_hi:[0,1]
	v_pk_add_f32 v[12:13], v[4:5], v[10:11] neg_lo:[0,1] neg_hi:[0,1]
	;; [unrolled: 1-line block ×4, first 2 shown]
	v_pk_add_f32 v[22:23], v[20:21], v[22:23]
	v_pk_add_f32 v[4:5], v[18:19], v[14:15] neg_lo:[0,1] neg_hi:[0,1]
	v_pk_add_f32 v[10:11], v[6:7], v[12:13]
	v_pk_mul_f32 v[28:29], v[8:9], s[2:3] op_sel_hi:[1,0]
	s_mov_b32 s2, 0x3f3bfb3b
	v_pk_add_f32 v[0:1], v[0:1], v[22:23]
	v_pk_add_f32 v[14:15], v[2:3], v[6:7] neg_lo:[0,1] neg_hi:[0,1]
	v_pk_add_f32 v[26:27], v[12:13], v[2:3] neg_lo:[0,1] neg_hi:[0,1]
	v_pk_add_f32 v[10:11], v[10:11], v[2:3]
	v_pk_mul_f32 v[2:3], v[4:5], s[2:3] op_sel_hi:[1,0]
	s_mov_b32 s2, 0x3eae86e6
	v_pk_fma_f32 v[4:5], v[22:23], s[0:1], v[0:1] op_sel_hi:[1,0,1]
	v_pk_add_f32 v[22:23], v[28:29], v[2:3] op_sel:[1,1] op_sel_hi:[0,0] neg_lo:[1,1] neg_hi:[1,1]
	v_pk_mul_f32 v[30:31], v[14:15], s[2:3] op_sel_hi:[1,0]
	v_pk_mul_f32 v[8:9], v[26:27], s[10:11] op_sel_hi:[1,0]
	v_pk_add_f32 v[26:27], v[22:23], v[4:5] op_sel:[0,1] op_sel_hi:[1,0]
	v_pk_add_f32 v[20:21], v[20:21], v[18:19] neg_lo:[0,1] neg_hi:[0,1]
	s_mov_b32 s10, 0x3d64c772
	v_pk_add_f32 v[22:23], v[6:7], v[12:13] neg_lo:[0,1] neg_hi:[0,1]
	s_mov_b32 s12, 0xbf08b237
	s_mov_b32 s6, 0x3ee1c552
	v_pk_fma_f32 v[14:15], v[14:15], s[2:3], v[8:9] op_sel_hi:[1,0,1] neg_lo:[1,0,1] neg_hi:[1,0,1]
	v_pk_fma_f32 v[6:7], v[20:21], s[10:11], v[28:29] op_sel_hi:[1,0,1]
	v_pk_fma_f32 v[12:13], v[22:23], s[12:13], v[30:31] op_sel_hi:[1,0,1]
	v_pk_add_f32 v[28:29], v[6:7], v[4:5]
	v_pk_fma_f32 v[12:13], v[10:11], s[6:7], v[12:13] op_sel_hi:[1,0,1]
	v_pk_fma_f32 v[14:15], v[10:11], s[6:7], v[14:15] op_sel_hi:[1,0,1]
	s_movk_i32 s0, 0x8c
	v_pk_add_f32 v[6:7], v[26:27], v[14:15] neg_lo:[0,1] neg_hi:[0,1]
	v_pk_add_f32 v[18:19], v[26:27], v[14:15]
	v_pk_add_f32 v[14:15], v[28:29], v[12:13] op_sel:[0,1] op_sel_hi:[1,0] neg_lo:[0,1] neg_hi:[0,1]
	v_pk_add_f32 v[12:13], v[28:29], v[12:13] op_sel:[0,1] op_sel_hi:[1,0]
	v_cmp_gt_u32_e64 s[0:1], s0, v25
	s_barrier
	s_and_saveexec_b64 s[2:3], s[0:1]
	s_cbranch_execz .LBB0_13
; %bb.12:
	v_pk_mul_f32 v[20:21], v[20:21], s[10:11] op_sel_hi:[1,0]
	v_pk_mul_f32 v[22:23], v[22:23], s[12:13] op_sel_hi:[1,0]
	v_mad_u32_u24 v28, v25, 48, v24
	v_mov_b32_e32 v26, v12
	v_mov_b32_e32 v27, v15
	v_pk_mul_f32 v[10:11], v[10:11], s[6:7] op_sel_hi:[1,0]
	ds_write2_b64 v28, v[0:1], v[26:27] offset1:1
	v_pk_add_f32 v[0:1], v[8:9], v[22:23] neg_lo:[0,1] neg_hi:[0,1]
	v_pk_add_f32 v[2:3], v[2:3], v[20:21] neg_lo:[0,1] neg_hi:[0,1]
	v_pk_add_f32 v[0:1], v[10:11], v[0:1]
	v_pk_add_f32 v[2:3], v[2:3], v[4:5]
	v_mov_b32_e32 v15, v13
	v_pk_add_f32 v[4:5], v[2:3], v[0:1] op_sel:[0,1] op_sel_hi:[1,0] neg_lo:[0,1] neg_hi:[0,1]
	v_pk_add_f32 v[0:1], v[2:3], v[0:1] op_sel:[0,1] op_sel_hi:[1,0]
	v_mov_b32_e32 v2, v19
	v_mov_b32_e32 v3, v6
	;; [unrolled: 1-line block ×4, first 2 shown]
	ds_write2_b64 v28, v[2:3], v[8:9] offset0:2 offset1:3
	v_mov_b32_e32 v1, v5
	v_mov_b32_e32 v2, v7
	;; [unrolled: 1-line block ×3, first 2 shown]
	ds_write2_b64 v28, v[0:1], v[2:3] offset0:4 offset1:5
	ds_write_b64 v28, v[14:15] offset:48
.LBB0_13:
	s_or_b64 exec, exec, s[2:3]
	v_mov_b32_e32 v0, 37
	v_mul_lo_u16_sdwa v0, v25, v0 dst_sel:DWORD dst_unused:UNUSED_PAD src0_sel:BYTE_0 src1_sel:DWORD
	v_sub_u16_sdwa v1, v25, v0 dst_sel:DWORD dst_unused:UNUSED_PAD src0_sel:DWORD src1_sel:BYTE_1
	v_lshrrev_b16_e32 v1, 1, v1
	v_and_b32_e32 v1, 0x7f, v1
	v_add_u16_sdwa v0, v1, v0 dst_sel:DWORD dst_unused:UNUSED_PAD src0_sel:DWORD src1_sel:BYTE_1
	v_lshrrev_b16_e32 v6, 2, v0
	v_mul_lo_u16_e32 v0, 7, v6
	v_sub_u16_e32 v12, v25, v0
	v_mov_b32_e32 v0, 5
	v_lshlrev_b32_sdwa v4, v0, v12 dst_sel:DWORD dst_unused:UNUSED_PAD src0_sel:DWORD src1_sel:BYTE_0
	s_waitcnt lgkmcnt(0)
	s_barrier
	global_load_dwordx4 v[0:3], v4, s[4:5]
	global_load_dwordx4 v[8:11], v4, s[4:5] offset:16
	v_add_u32_e32 v15, 0x600, v24
	ds_read2_b32 v[4:5], v24 offset1:1
	v_add_u32_e32 v19, 0x1200, v24
	ds_read2_b64 v[20:23], v15 offset0:4 offset1:200
	ds_read2_b64 v[26:29], v19 offset0:12 offset1:208
	v_mov_b32_e32 v30, 3
	v_lshlrev_b32_sdwa v12, v30, v12 dst_sel:DWORD dst_unused:UNUSED_PAD src0_sel:DWORD src1_sel:BYTE_0
	v_mul_u32_u24_e32 v6, 0x118, v6
	v_add3_u32 v6, 0, v6, v12
	s_mov_b32 s2, 0x3f737871
	s_mov_b32 s6, 0x3f167918
	;; [unrolled: 1-line block ×3, first 2 shown]
	s_waitcnt lgkmcnt(0)
	s_barrier
	s_waitcnt vmcnt(1)
	v_pk_mul_f32 v[30:31], v[0:1], v[20:21] op_sel:[0,1]
	v_pk_mul_f32 v[32:33], v[2:3], v[22:23] op_sel:[0,1]
	s_waitcnt vmcnt(0)
	v_pk_mul_f32 v[34:35], v[8:9], v[26:27] op_sel:[0,1]
	v_pk_mul_f32 v[36:37], v[10:11], v[28:29] op_sel:[0,1]
	v_pk_fma_f32 v[38:39], v[0:1], v[20:21], v[30:31] op_sel:[0,0,1] op_sel_hi:[1,0,0] neg_lo:[0,0,1] neg_hi:[0,0,1]
	v_pk_fma_f32 v[0:1], v[0:1], v[20:21], v[30:31] op_sel:[0,0,1] op_sel_hi:[1,0,0]
	v_pk_fma_f32 v[20:21], v[2:3], v[22:23], v[32:33] op_sel:[0,0,1] op_sel_hi:[1,0,0] neg_lo:[0,0,1] neg_hi:[0,0,1]
	v_pk_fma_f32 v[2:3], v[2:3], v[22:23], v[32:33] op_sel:[0,0,1] op_sel_hi:[1,0,0]
	;; [unrolled: 2-line block ×4, first 2 shown]
	v_mov_b32_e32 v39, v1
	v_mov_b32_e32 v21, v3
	;; [unrolled: 1-line block ×4, first 2 shown]
	v_add_f32_e32 v0, v38, v4
	v_add_f32_e32 v2, v5, v1
	;; [unrolled: 1-line block ×3, first 2 shown]
	v_pk_add_f32 v[0:1], v[20:21], v[22:23]
	v_add_f32_e32 v12, v2, v3
	v_pk_add_f32 v[2:3], v[38:39], v[26:27]
	v_pk_add_f32 v[10:11], v[38:39], v[26:27] neg_lo:[0,1] neg_hi:[0,1]
	v_pk_add_f32 v[28:29], v[20:21], v[22:23] neg_lo:[0,1] neg_hi:[0,1]
	v_pk_add_f32 v[30:31], v[38:39], v[20:21] neg_lo:[0,1] neg_hi:[0,1]
	v_pk_add_f32 v[32:33], v[26:27], v[22:23] neg_lo:[0,1] neg_hi:[0,1]
	v_pk_add_f32 v[20:21], v[20:21], v[38:39] neg_lo:[0,1] neg_hi:[0,1]
	v_pk_add_f32 v[34:35], v[22:23], v[26:27] neg_lo:[0,1] neg_hi:[0,1]
	v_add_f32_e32 v8, v8, v22
	v_pk_fma_f32 v[22:23], v[0:1], 0.5, v[4:5] op_sel_hi:[1,0,1] neg_lo:[1,0,0] neg_hi:[1,0,0]
	v_add_f32_e32 v9, v12, v9
	v_pk_fma_f32 v[2:3], v[2:3], 0.5, v[4:5] op_sel_hi:[1,0,1] neg_lo:[1,0,0] neg_hi:[1,0,0]
	v_pk_add_f32 v[4:5], v[20:21], v[34:35]
	v_pk_add_f32 v[0:1], v[8:9], v[26:27]
	v_pk_fma_f32 v[8:9], v[10:11], s[2:3], v[22:23] op_sel:[1,0,0] op_sel_hi:[0,0,1]
	v_pk_fma_f32 v[20:21], v[10:11], s[2:3], v[22:23] op_sel:[1,0,0] op_sel_hi:[0,0,1] neg_lo:[1,0,0] neg_hi:[1,0,0]
	v_pk_fma_f32 v[22:23], v[28:29], s[2:3], v[2:3] op_sel:[1,0,0] op_sel_hi:[0,0,1] neg_lo:[1,0,0] neg_hi:[1,0,0]
	v_pk_fma_f32 v[2:3], v[28:29], s[2:3], v[2:3] op_sel:[1,0,0] op_sel_hi:[0,0,1]
	v_pk_fma_f32 v[20:21], v[28:29], s[6:7], v[20:21] op_sel:[1,0,0] op_sel_hi:[0,0,1] neg_lo:[1,0,0] neg_hi:[1,0,0]
	v_pk_fma_f32 v[8:9], v[28:29], s[6:7], v[8:9] op_sel:[1,0,0] op_sel_hi:[0,0,1]
	v_pk_fma_f32 v[26:27], v[10:11], s[6:7], v[2:3] op_sel:[1,0,0] op_sel_hi:[0,0,1] neg_lo:[1,0,0] neg_hi:[1,0,0]
	v_pk_fma_f32 v[2:3], v[10:11], s[6:7], v[22:23] op_sel:[1,0,0] op_sel_hi:[0,0,1]
	v_pk_add_f32 v[30:31], v[30:31], v[32:33]
	v_mov_b32_e32 v10, v8
	v_mov_b32_e32 v11, v21
	;; [unrolled: 1-line block ×6, first 2 shown]
	v_pk_fma_f32 v[2:3], v[30:31], s[10:11], v[10:11] op_sel_hi:[1,0,1]
	v_pk_fma_f32 v[8:9], v[4:5], s[10:11], v[22:23] op_sel_hi:[1,0,1]
	;; [unrolled: 1-line block ×4, first 2 shown]
	ds_write2_b64 v6, v[0:1], v[2:3] offset1:7
	ds_write2_b64 v6, v[8:9], v[10:11] offset0:14 offset1:21
	ds_write_b64 v6, v[4:5] offset:224
	s_waitcnt lgkmcnt(0)
	s_barrier
	s_and_saveexec_b64 s[2:3], s[0:1]
	s_cbranch_execz .LBB0_15
; %bb.14:
	v_add_u32_e32 v4, 0x1000, v24
	ds_read2_b64 v[0:3], v24 offset1:140
	ds_read_b64 v[12:13], v24 offset:6720
	ds_read2_b64 v[4:7], v4 offset0:48 offset1:188
	v_add_u32_e32 v8, 0x800, v24
	ds_read2_b64 v[8:11], v8 offset0:24 offset1:164
	s_waitcnt lgkmcnt(2)
	v_mov_b32_e32 v14, v12
	s_waitcnt lgkmcnt(1)
	v_mov_b32_e32 v18, v7
	v_mov_b32_e32 v7, v6
.LBB0_15:
	s_or_b64 exec, exec, s[2:3]
	s_movk_i32 s2, 0xeb
	v_mul_lo_u16_sdwa v6, v25, s2 dst_sel:DWORD dst_unused:UNUSED_PAD src0_sel:BYTE_0 src1_sel:DWORD
	v_lshrrev_b16_e32 v12, 13, v6
	v_mul_lo_u16_e32 v6, 35, v12
	v_sub_u16_e32 v15, v25, v6
	v_mov_b32_e32 v6, 6
	v_mul_u32_u24_sdwa v6, v15, v6 dst_sel:DWORD dst_unused:UNUSED_PAD src0_sel:BYTE_0 src1_sel:DWORD
	v_lshlrev_b32_e32 v6, 3, v6
	global_load_dwordx4 v[20:23], v6, s[4:5] offset:224
	global_load_dwordx4 v[26:29], v6, s[4:5] offset:240
	;; [unrolled: 1-line block ×3, first 2 shown]
	s_mov_b32 s6, 0x3d64c772
	s_mov_b32 s16, 0x3f5ff5aa
	;; [unrolled: 1-line block ×8, first 2 shown]
	s_waitcnt lgkmcnt(0)
	s_barrier
	s_waitcnt vmcnt(2)
	v_mul_f32_e32 v6, v3, v21
	v_mul_f32_e32 v35, v2, v21
	v_mul_f32_e32 v36, v9, v23
	v_mul_f32_e32 v21, v8, v23
	s_waitcnt vmcnt(1)
	v_mul_f32_e32 v37, v11, v27
	v_mul_f32_e32 v23, v10, v27
	v_mul_f32_e32 v38, v5, v29
	v_mul_f32_e32 v27, v4, v29
	;; [unrolled: 5-line block ×3, first 2 shown]
	v_fma_f32 v34, v2, v20, -v6
	v_fmac_f32_e32 v35, v3, v20
	v_fma_f32 v20, v8, v22, -v36
	v_fmac_f32_e32 v21, v9, v22
	v_fma_f32 v22, v10, v26, -v37
	v_fmac_f32_e32 v23, v11, v26
	v_fma_f32 v26, v4, v28, -v38
	v_fmac_f32_e32 v27, v5, v28
	v_fma_f32 v28, v7, v30, -v39
	v_fmac_f32_e32 v29, v18, v30
	v_fma_f32 v18, v14, v32, -v31
	v_fmac_f32_e32 v19, v13, v32
	v_pk_add_f32 v[2:3], v[34:35], v[18:19]
	v_pk_add_f32 v[6:7], v[20:21], v[28:29]
	v_pk_add_f32 v[4:5], v[34:35], v[18:19] neg_lo:[0,1] neg_hi:[0,1]
	v_pk_add_f32 v[8:9], v[20:21], v[28:29] neg_lo:[0,1] neg_hi:[0,1]
	v_pk_add_f32 v[10:11], v[22:23], v[26:27]
	v_pk_add_f32 v[18:19], v[26:27], v[22:23] neg_lo:[0,1] neg_hi:[0,1]
	v_pk_add_f32 v[20:21], v[6:7], v[2:3]
	v_pk_add_f32 v[22:23], v[6:7], v[2:3] neg_lo:[0,1] neg_hi:[0,1]
	v_pk_add_f32 v[6:7], v[10:11], v[6:7] neg_lo:[0,1] neg_hi:[0,1]
	v_pk_add_f32 v[26:27], v[18:19], v[8:9] op_sel:[1,1] op_sel_hi:[0,0]
	v_pk_add_f32 v[28:29], v[18:19], v[8:9] op_sel:[1,1] op_sel_hi:[0,0] neg_lo:[0,1] neg_hi:[0,1]
	v_pk_add_f32 v[8:9], v[8:9], v[4:5] op_sel:[1,1] op_sel_hi:[0,0] neg_lo:[0,1] neg_hi:[0,1]
	v_mov_b32_e32 v31, v11
	v_pk_add_f32 v[2:3], v[2:3], v[10:11] neg_lo:[0,1] neg_hi:[0,1]
	v_pk_add_f32 v[18:19], v[4:5], v[18:19] op_sel:[1,1] op_sel_hi:[0,0] neg_lo:[0,1] neg_hi:[0,1]
	v_mov_b32_e32 v30, v20
	v_mov_b32_e32 v20, v10
	v_pk_add_f32 v[4:5], v[26:27], v[4:5] op_sel:[0,1] op_sel_hi:[1,0]
	v_pk_mul_f32 v[10:11], v[6:7], s[6:7] op_sel_hi:[1,0]
	v_pk_mul_f32 v[8:9], v[8:9], s[16:17] op_sel_hi:[1,0]
	;; [unrolled: 1-line block ×4, first 2 shown]
	v_pk_add_f32 v[20:21], v[30:31], v[20:21]
	v_pk_fma_f32 v[10:11], v[22:23], s[10:11], v[10:11] op_sel_hi:[1,0,1] neg_lo:[0,0,1] neg_hi:[0,0,1]
	v_pk_fma_f32 v[30:31], v[28:29], s[14:15], v[8:9] op_sel_hi:[1,0,1] neg_lo:[1,0,0] neg_hi:[1,0,0]
	;; [unrolled: 1-line block ×4, first 2 shown]
	v_pk_fma_f32 v[2:3], v[6:7], s[6:7], v[2:3] op_sel_hi:[1,0,1]
	v_pk_fma_f32 v[18:19], v[28:29], s[14:15], v[26:27] op_sel_hi:[1,0,1]
	v_pk_add_f32 v[6:7], v[0:1], v[20:21]
	v_pk_fma_f32 v[0:1], v[4:5], s[12:13], v[30:31] op_sel_hi:[1,0,1]
	v_pk_fma_f32 v[26:27], v[4:5], s[12:13], v[18:19] op_sel_hi:[1,0,1]
	;; [unrolled: 1-line block ×4, first 2 shown]
	s_nop 0
	v_pk_add_f32 v[10:11], v[10:11], v[8:9]
	v_pk_add_f32 v[20:21], v[22:23], v[8:9]
	;; [unrolled: 1-line block ×4, first 2 shown]
	v_pk_add_f32 v[10:11], v[10:11], v[0:1] neg_lo:[0,1] neg_hi:[0,1]
	v_pk_add_f32 v[18:19], v[20:21], v[4:5] neg_lo:[0,1] neg_hi:[0,1]
	v_pk_add_f32 v[2:3], v[20:21], v[4:5]
	v_pk_add_f32 v[20:21], v[22:23], v[26:27] neg_lo:[0,1] neg_hi:[0,1]
	v_pk_add_f32 v[4:5], v[22:23], v[26:27]
	v_mov_b32_e32 v0, v8
	v_mov_b32_e32 v1, v11
	s_and_saveexec_b64 s[2:3], s[0:1]
	s_cbranch_execz .LBB0_17
; %bb.16:
	v_mov_b32_e32 v11, 3
	v_mul_u32_u24_e32 v8, 0x7a8, v12
	v_lshlrev_b32_sdwa v11, v11, v15 dst_sel:DWORD dst_unused:UNUSED_PAD src0_sel:DWORD src1_sel:BYTE_0
	v_add3_u32 v8, 0, v8, v11
	v_mov_b32_e32 v12, v4
	v_mov_b32_e32 v13, v21
	ds_write2_b64 v8, v[6:7], v[12:13] offset1:35
	v_mov_b32_e32 v6, v2
	v_mov_b32_e32 v7, v19
	;; [unrolled: 1-line block ×5, first 2 shown]
	ds_write2_b64 v8, v[6:7], v[10:11] offset0:70 offset1:105
	ds_write2_b64 v8, v[0:1], v[18:19] offset0:140 offset1:175
	ds_write_b64 v8, v[20:21] offset:1680
.LBB0_17:
	s_or_b64 exec, exec, s[2:3]
	v_add_u32_e32 v19, 0xf00, v24
	s_waitcnt lgkmcnt(0)
	s_barrier
	ds_read2_b64 v[8:11], v24 offset1:245
	ds_read2_b64 v[12:15], v19 offset0:10 offset1:255
	v_cmp_gt_u32_e64 s[0:1], 49, v25
	s_and_saveexec_b64 s[2:3], s[0:1]
	s_cbranch_execz .LBB0_19
; %bb.18:
	v_add_u32_e32 v0, 0x600, v24
	v_add_u32_e32 v1, 0x1540, v24
	ds_read2_b64 v[4:7], v1 offset0:6 offset1:251
	ds_read2_b64 v[0:3], v0 offset0:4 offset1:249
	s_waitcnt lgkmcnt(1)
	v_mov_b32_e32 v20, v4
	s_waitcnt lgkmcnt(0)
	v_mov_b32_e32 v18, v2
.LBB0_19:
	s_or_b64 exec, exec, s[2:3]
	v_mul_u32_u24_e32 v2, 3, v25
	v_lshlrev_b32_e32 v2, 3, v2
	global_load_dwordx4 v[26:29], v2, s[4:5] offset:1904
	global_load_dwordx2 v[22:23], v2, s[4:5] offset:1920
	v_add_u32_e32 v2, 0xc4, v25
	s_waitcnt lgkmcnt(0)
	s_barrier
	s_waitcnt vmcnt(1)
	v_pk_mul_f32 v[30:31], v[26:27], v[10:11] op_sel:[0,1]
	v_pk_mul_f32 v[32:33], v[28:29], v[12:13] op_sel:[0,1]
	s_waitcnt vmcnt(0)
	v_pk_mul_f32 v[34:35], v[22:23], v[14:15] op_sel:[0,1]
	v_pk_fma_f32 v[36:37], v[26:27], v[10:11], v[30:31] op_sel:[0,0,1] op_sel_hi:[1,1,0] neg_lo:[0,0,1] neg_hi:[0,0,1]
	v_pk_fma_f32 v[10:11], v[26:27], v[10:11], v[30:31] op_sel:[0,0,1] op_sel_hi:[1,0,0]
	v_pk_fma_f32 v[26:27], v[28:29], v[12:13], v[32:33] op_sel:[0,0,1] op_sel_hi:[1,1,0] neg_lo:[0,0,1] neg_hi:[0,0,1]
	v_pk_fma_f32 v[12:13], v[28:29], v[12:13], v[32:33] op_sel:[0,0,1] op_sel_hi:[1,0,0]
	;; [unrolled: 2-line block ×3, first 2 shown]
	v_mov_b32_e32 v37, v11
	v_mov_b32_e32 v27, v13
	;; [unrolled: 1-line block ×3, first 2 shown]
	v_pk_add_f32 v[10:11], v[8:9], v[26:27] neg_lo:[0,1] neg_hi:[0,1]
	v_pk_add_f32 v[12:13], v[36:37], v[28:29] neg_lo:[0,1] neg_hi:[0,1]
	v_pk_fma_f32 v[8:9], v[8:9], 2.0, v[10:11] op_sel_hi:[1,0,1] neg_lo:[0,0,1] neg_hi:[0,0,1]
	v_pk_fma_f32 v[14:15], v[36:37], 2.0, v[12:13] op_sel_hi:[1,0,1] neg_lo:[0,0,1] neg_hi:[0,0,1]
	v_pk_add_f32 v[22:23], v[10:11], v[12:13] op_sel:[0,1] op_sel_hi:[1,0] neg_lo:[0,1] neg_hi:[0,1]
	v_pk_add_f32 v[12:13], v[10:11], v[12:13] op_sel:[0,1] op_sel_hi:[1,0]
	v_pk_add_f32 v[14:15], v[8:9], v[14:15] neg_lo:[0,1] neg_hi:[0,1]
	v_mov_b32_e32 v23, v13
	v_pk_fma_f32 v[8:9], v[8:9], 2.0, v[14:15] op_sel_hi:[1,0,1] neg_lo:[0,0,1] neg_hi:[0,0,1]
	v_pk_fma_f32 v[10:11], v[10:11], 2.0, v[22:23] op_sel_hi:[1,0,1] neg_lo:[0,0,1] neg_hi:[0,0,1]
	ds_write2_b64 v24, v[8:9], v[10:11] offset1:245
	ds_write2_b64 v19, v[14:15], v[22:23] offset0:10 offset1:255
	s_and_saveexec_b64 s[2:3], s[0:1]
	s_cbranch_execz .LBB0_21
; %bb.20:
	v_subrev_u32_e32 v4, 49, v25
	v_cndmask_b32_e64 v4, v4, v2, s[0:1]
	v_mul_i32_i24_e32 v8, 3, v4
	v_mov_b32_e32 v9, 0
	v_lshl_add_u64 v[12:13], v[8:9], 3, s[4:5]
	global_load_dwordx4 v[8:11], v[12:13], off offset:1904
	global_load_dwordx2 v[14:15], v[12:13], off offset:1920
	v_mov_b32_e32 v4, v5
	v_mov_b32_e32 v12, v3
	;; [unrolled: 1-line block ×3, first 2 shown]
	v_add_u32_e32 v19, 0x1540, v24
	v_add_u32_e32 v3, 0x600, v24
	s_waitcnt vmcnt(1)
	v_pk_mul_f32 v[4:5], v[4:5], v[10:11] op_sel_hi:[0,1]
	v_pk_mul_f32 v[12:13], v[12:13], v[8:9] op_sel_hi:[0,1]
	s_waitcnt vmcnt(0)
	v_pk_mul_f32 v[22:23], v[22:23], v[14:15] op_sel_hi:[0,1]
	v_pk_fma_f32 v[26:27], v[20:21], v[10:11], v[4:5] op_sel:[0,0,1] op_sel_hi:[1,1,0] neg_lo:[0,0,1] neg_hi:[0,0,1]
	v_pk_fma_f32 v[4:5], v[20:21], v[10:11], v[4:5] op_sel:[0,0,1] op_sel_hi:[0,1,0]
	v_pk_fma_f32 v[10:11], v[18:19], v[8:9], v[12:13] op_sel:[0,0,1] op_sel_hi:[1,1,0] neg_lo:[0,0,1] neg_hi:[0,0,1]
	v_pk_fma_f32 v[8:9], v[18:19], v[8:9], v[12:13] op_sel:[0,0,1] op_sel_hi:[0,1,0]
	;; [unrolled: 2-line block ×3, first 2 shown]
	v_mov_b32_e32 v27, v5
	v_mov_b32_e32 v11, v9
	;; [unrolled: 1-line block ×3, first 2 shown]
	v_pk_add_f32 v[4:5], v[0:1], v[26:27] neg_lo:[0,1] neg_hi:[0,1]
	v_pk_add_f32 v[6:7], v[10:11], v[12:13] neg_lo:[0,1] neg_hi:[0,1]
	v_pk_fma_f32 v[0:1], v[0:1], 2.0, v[4:5] op_sel_hi:[1,0,1] neg_lo:[0,0,1] neg_hi:[0,0,1]
	v_pk_fma_f32 v[8:9], v[10:11], 2.0, v[6:7] op_sel_hi:[1,0,1] neg_lo:[0,0,1] neg_hi:[0,0,1]
	v_pk_add_f32 v[10:11], v[4:5], v[6:7] op_sel:[0,1] op_sel_hi:[1,0] neg_lo:[0,1] neg_hi:[0,1]
	v_pk_add_f32 v[6:7], v[4:5], v[6:7] op_sel:[0,1] op_sel_hi:[1,0]
	v_pk_add_f32 v[8:9], v[0:1], v[8:9] neg_lo:[0,1] neg_hi:[0,1]
	v_mov_b32_e32 v11, v7
	v_pk_fma_f32 v[0:1], v[0:1], 2.0, v[8:9] op_sel_hi:[1,0,1] neg_lo:[0,0,1] neg_hi:[0,0,1]
	v_pk_fma_f32 v[4:5], v[4:5], 2.0, v[10:11] op_sel_hi:[1,0,1] neg_lo:[0,0,1] neg_hi:[0,0,1]
	ds_write2_b64 v3, v[0:1], v[4:5] offset0:4 offset1:249
	ds_write2_b64 v19, v[8:9], v[10:11] offset0:6 offset1:251
.LBB0_21:
	s_or_b64 exec, exec, s[2:3]
	s_waitcnt lgkmcnt(0)
	s_barrier
	s_and_saveexec_b64 s[0:1], vcc
	s_cbranch_execz .LBB0_23
; %bb.22:
	v_mad_u64_u32 v[0:1], s[0:1], s8, v25, 0
	ds_read2_b64 v[4:7], v24 offset1:196
	v_mov_b32_e32 v8, v1
	v_mad_u64_u32 v[8:9], s[0:1], s9, v25, v[8:9]
	v_mov_b32_e32 v1, v8
	v_lshl_add_u64 v[0:1], v[0:1], 3, v[16:17]
	s_waitcnt lgkmcnt(0)
	global_store_dwordx2 v[0:1], v[4:5], off
	v_mad_u64_u32 v[0:1], s[0:1], s8, v2, 0
	v_mov_b32_e32 v4, v1
	v_mad_u64_u32 v[2:3], s[0:1], s9, v2, v[4:5]
	v_mov_b32_e32 v1, v2
	v_lshl_add_u64 v[0:1], v[0:1], 3, v[16:17]
	global_store_dwordx2 v[0:1], v[6:7], off
	v_add_u32_e32 v7, 0x188, v25
	v_add_u32_e32 v0, 0xc00, v24
	v_mad_u64_u32 v[4:5], s[0:1], s8, v7, 0
	ds_read2_b64 v[0:3], v0 offset0:8 offset1:204
	v_mov_b32_e32 v6, v5
	v_mad_u64_u32 v[6:7], s[0:1], s9, v7, v[6:7]
	v_mov_b32_e32 v5, v6
	v_lshl_add_u64 v[4:5], v[4:5], 3, v[16:17]
	s_waitcnt lgkmcnt(0)
	global_store_dwordx2 v[4:5], v[0:1], off
	v_add_u32_e32 v5, 0x24c, v25
	v_mad_u64_u32 v[0:1], s[0:1], s8, v5, 0
	v_mov_b32_e32 v4, v1
	v_mad_u64_u32 v[4:5], s[0:1], s9, v5, v[4:5]
	v_mov_b32_e32 v1, v4
	v_lshl_add_u64 v[0:1], v[0:1], 3, v[16:17]
	global_store_dwordx2 v[0:1], v[2:3], off
	v_add_u32_e32 v3, 0x310, v25
	v_mad_u64_u32 v[0:1], s[0:1], s8, v3, 0
	ds_read_b64 v[4:5], v24 offset:6272
	v_mov_b32_e32 v2, v1
	v_mad_u64_u32 v[2:3], s[0:1], s9, v3, v[2:3]
	v_mov_b32_e32 v1, v2
	v_lshl_add_u64 v[0:1], v[0:1], 3, v[16:17]
	s_waitcnt lgkmcnt(0)
	global_store_dwordx2 v[0:1], v[4:5], off
.LBB0_23:
	s_endpgm
	.section	.rodata,"a",@progbits
	.p2align	6, 0x0
	.amdhsa_kernel fft_rtc_fwd_len980_factors_7_5_7_4_wgs_196_tpt_196_sp_ip_CI_sbrr_dirReg
		.amdhsa_group_segment_fixed_size 0
		.amdhsa_private_segment_fixed_size 0
		.amdhsa_kernarg_size 88
		.amdhsa_user_sgpr_count 2
		.amdhsa_user_sgpr_dispatch_ptr 0
		.amdhsa_user_sgpr_queue_ptr 0
		.amdhsa_user_sgpr_kernarg_segment_ptr 1
		.amdhsa_user_sgpr_dispatch_id 0
		.amdhsa_user_sgpr_kernarg_preload_length 0
		.amdhsa_user_sgpr_kernarg_preload_offset 0
		.amdhsa_user_sgpr_private_segment_size 0
		.amdhsa_uses_dynamic_stack 0
		.amdhsa_enable_private_segment 0
		.amdhsa_system_sgpr_workgroup_id_x 1
		.amdhsa_system_sgpr_workgroup_id_y 0
		.amdhsa_system_sgpr_workgroup_id_z 0
		.amdhsa_system_sgpr_workgroup_info 0
		.amdhsa_system_vgpr_workitem_id 0
		.amdhsa_next_free_vgpr 40
		.amdhsa_next_free_sgpr 24
		.amdhsa_accum_offset 40
		.amdhsa_reserve_vcc 1
		.amdhsa_float_round_mode_32 0
		.amdhsa_float_round_mode_16_64 0
		.amdhsa_float_denorm_mode_32 3
		.amdhsa_float_denorm_mode_16_64 3
		.amdhsa_dx10_clamp 1
		.amdhsa_ieee_mode 1
		.amdhsa_fp16_overflow 0
		.amdhsa_tg_split 0
		.amdhsa_exception_fp_ieee_invalid_op 0
		.amdhsa_exception_fp_denorm_src 0
		.amdhsa_exception_fp_ieee_div_zero 0
		.amdhsa_exception_fp_ieee_overflow 0
		.amdhsa_exception_fp_ieee_underflow 0
		.amdhsa_exception_fp_ieee_inexact 0
		.amdhsa_exception_int_div_zero 0
	.end_amdhsa_kernel
	.text
.Lfunc_end0:
	.size	fft_rtc_fwd_len980_factors_7_5_7_4_wgs_196_tpt_196_sp_ip_CI_sbrr_dirReg, .Lfunc_end0-fft_rtc_fwd_len980_factors_7_5_7_4_wgs_196_tpt_196_sp_ip_CI_sbrr_dirReg
                                        ; -- End function
	.section	.AMDGPU.csdata,"",@progbits
; Kernel info:
; codeLenInByte = 4336
; NumSgprs: 30
; NumVgprs: 40
; NumAgprs: 0
; TotalNumVgprs: 40
; ScratchSize: 0
; MemoryBound: 0
; FloatMode: 240
; IeeeMode: 1
; LDSByteSize: 0 bytes/workgroup (compile time only)
; SGPRBlocks: 3
; VGPRBlocks: 4
; NumSGPRsForWavesPerEU: 30
; NumVGPRsForWavesPerEU: 40
; AccumOffset: 40
; Occupancy: 8
; WaveLimiterHint : 1
; COMPUTE_PGM_RSRC2:SCRATCH_EN: 0
; COMPUTE_PGM_RSRC2:USER_SGPR: 2
; COMPUTE_PGM_RSRC2:TRAP_HANDLER: 0
; COMPUTE_PGM_RSRC2:TGID_X_EN: 1
; COMPUTE_PGM_RSRC2:TGID_Y_EN: 0
; COMPUTE_PGM_RSRC2:TGID_Z_EN: 0
; COMPUTE_PGM_RSRC2:TIDIG_COMP_CNT: 0
; COMPUTE_PGM_RSRC3_GFX90A:ACCUM_OFFSET: 9
; COMPUTE_PGM_RSRC3_GFX90A:TG_SPLIT: 0
	.text
	.p2alignl 6, 3212836864
	.fill 256, 4, 3212836864
	.type	__hip_cuid_d73ea3f1422f8333,@object ; @__hip_cuid_d73ea3f1422f8333
	.section	.bss,"aw",@nobits
	.globl	__hip_cuid_d73ea3f1422f8333
__hip_cuid_d73ea3f1422f8333:
	.byte	0                               ; 0x0
	.size	__hip_cuid_d73ea3f1422f8333, 1

	.ident	"AMD clang version 19.0.0git (https://github.com/RadeonOpenCompute/llvm-project roc-6.4.0 25133 c7fe45cf4b819c5991fe208aaa96edf142730f1d)"
	.section	".note.GNU-stack","",@progbits
	.addrsig
	.addrsig_sym __hip_cuid_d73ea3f1422f8333
	.amdgpu_metadata
---
amdhsa.kernels:
  - .agpr_count:     0
    .args:
      - .actual_access:  read_only
        .address_space:  global
        .offset:         0
        .size:           8
        .value_kind:     global_buffer
      - .offset:         8
        .size:           8
        .value_kind:     by_value
      - .actual_access:  read_only
        .address_space:  global
        .offset:         16
        .size:           8
        .value_kind:     global_buffer
      - .actual_access:  read_only
        .address_space:  global
        .offset:         24
        .size:           8
        .value_kind:     global_buffer
      - .offset:         32
        .size:           8
        .value_kind:     by_value
      - .actual_access:  read_only
        .address_space:  global
        .offset:         40
        .size:           8
        .value_kind:     global_buffer
      - .actual_access:  read_only
        .address_space:  global
        .offset:         48
        .size:           8
        .value_kind:     global_buffer
      - .offset:         56
        .size:           4
        .value_kind:     by_value
      - .actual_access:  read_only
        .address_space:  global
        .offset:         64
        .size:           8
        .value_kind:     global_buffer
      - .actual_access:  read_only
        .address_space:  global
        .offset:         72
        .size:           8
        .value_kind:     global_buffer
      - .address_space:  global
        .offset:         80
        .size:           8
        .value_kind:     global_buffer
    .group_segment_fixed_size: 0
    .kernarg_segment_align: 8
    .kernarg_segment_size: 88
    .language:       OpenCL C
    .language_version:
      - 2
      - 0
    .max_flat_workgroup_size: 196
    .name:           fft_rtc_fwd_len980_factors_7_5_7_4_wgs_196_tpt_196_sp_ip_CI_sbrr_dirReg
    .private_segment_fixed_size: 0
    .sgpr_count:     30
    .sgpr_spill_count: 0
    .symbol:         fft_rtc_fwd_len980_factors_7_5_7_4_wgs_196_tpt_196_sp_ip_CI_sbrr_dirReg.kd
    .uniform_work_group_size: 1
    .uses_dynamic_stack: false
    .vgpr_count:     40
    .vgpr_spill_count: 0
    .wavefront_size: 64
amdhsa.target:   amdgcn-amd-amdhsa--gfx950
amdhsa.version:
  - 1
  - 2
...

	.end_amdgpu_metadata
